;; amdgpu-corpus repo=ROCm/aiter kind=harvested arch=n/a opt=n/a

/root/src/amdgpu-assembly/repos/ROCm__aiter/hsa/gfx942/fmha_v3_bwd/bwd_hd64_odo_bf16_group.co:	file format elf64-amdgpu

Disassembly of section .text:

0000000000002400 <_ZN5aiter28fmha_bwd_hd64_odo_bf16_groupE>:
	s_and_b32 s1, s1, 0xffff                                   // 000000002400: 8601FF01 0000FFFF
	s_load_dwordx2 s[12:13], s[0:1], 0x0                       // 000000002408: C0060300 00000000
	s_load_dwordx2 s[20:21], s[0:1], 0x10                      // 000000002410: C0060500 00000010
	s_load_dwordx2 s[16:17], s[0:1], 0x20                      // 000000002418: C0060400 00000020
	s_load_dword s6, s[0:1], 0x30                              // 000000002420: C0020180 00000030
	s_load_dword s8, s[0:1], 0x50                              // 000000002428: C0020200 00000050
	s_load_dword s50, s[0:1], 0x60                             // 000000002430: C0020C80 00000060
	s_load_dword s52, s[0:1], 0x80                             // 000000002438: C0020D00 00000080
	s_load_dword s9, s[0:1], 0x90                              // 000000002440: C0020240 00000090
	s_load_dword s11, s[0:1], 0xb0                             // 000000002448: C00202C0 000000B0
	s_load_dword s37, s[0:1], 0xd0                             // 000000002450: C0020940 000000D0
	s_load_dwordx2 s[40:41], s[0:1], 0xe0                      // 000000002458: C0060A00 000000E0
	s_load_dwordx2 s[44:45], s[0:1], 0xf0                      // 000000002460: C0060B00 000000F0
	v_lshrrev_b32_e32 v1, 10, v0                               // 000000002468: 2002008A
	v_lshrrev_b32_e32 v2, 10, v1                               // 00000000246C: 2004028A
	v_and_b32_e32 v2, 0x3ff, v2                                // 000000002470: 260404FF 000003FF
	v_and_b32_e32 v1, 0x3ff, v1                                // 000000002478: 260202FF 000003FF
	v_and_b32_e32 v0, 0x3ff, v0                                // 000000002480: 260000FF 000003FF
	v_lshrrev_b32_e32 v3, 6, v0                                // 000000002488: 20060086
	v_and_b32_e32 v0, 63, v0                                   // 00000000248C: 260000BF
	s_mov_b32 s2, s2                                           // 000000002490: BE820002
	s_mov_b32 s3, s3                                           // 000000002494: BE830003
	s_mov_b32 s4, s4                                           // 000000002498: BE840004
	v_readfirstlane_b32 s30, v3                                // 00000000249C: 7E3C0503
	s_waitcnt lgkmcnt(0)                                       // 0000000024A0: BF8CC07F
	s_mul_i32 s31, s4, 4                                       // 0000000024A4: 921F8404
	s_add_u32 s40, s31, s40                                    // 0000000024A8: 8028281F
	s_addc_u32 s41, 0, s41                                     // 0000000024AC: 82292980
	s_load_dwordx2 s[42:43], s[40:41], 0x0                     // 0000000024B0: C0060A94 00000000
	s_add_u32 s44, s31, s44                                    // 0000000024B8: 802C2C1F
	s_addc_u32 s45, 0, s45                                     // 0000000024BC: 822D2D80
	s_load_dword s46, s[44:45], 0x0                            // 0000000024C0: C0020B96 00000000
	s_mov_b32 s15, 0x20000                                     // 0000000024C8: BE8F00FF 00020000
	s_mov_b32 s19, 0x20000                                     // 0000000024D0: BE9300FF 00020000
	s_mov_b32 s23, 0x20000                                     // 0000000024D8: BE9700FF 00020000
	s_and_b32 s13, s13, 0xffff                                 // 0000000024E0: 860DFF0D 0000FFFF
	s_and_b32 s17, s17, 0xffff                                 // 0000000024E8: 8611FF11 0000FFFF
	s_and_b32 s21, s21, 0xffff                                 // 0000000024F0: 8615FF15 0000FFFF
	s_or_b32 s13, s13, 0x40000                                 // 0000000024F8: 870DFF0D 00040000
	s_or_b32 s17, s17, 0x40000                                 // 000000002500: 8711FF11 00040000
	s_or_b32 s21, s21, 0x40000                                 // 000000002508: 8715FF15 00040000
	v_mov_b32_e32 v31, 0                                       // 000000002510: 7E3E0280
	s_mov_b32 s24, s12                                         // 000000002514: BE98000C
	s_mov_b32 s25, s13                                         // 000000002518: BE99000D
	s_mov_b32 s26, s16                                         // 00000000251C: BE9A0010
	s_mov_b32 s27, s17                                         // 000000002520: BE9B0011
	s_mov_b32 s28, s20                                         // 000000002524: BE9C0014
	s_mov_b32 s29, s21                                         // 000000002528: BE9D0015
	s_waitcnt lgkmcnt(0)                                       // 00000000252C: BF8CC07F
	s_mul_i32 s31, s2, 0x80                                    // 000000002530: 921FFF02 00000080
	s_sub_i32 s39, s43, s42                                    // 000000002538: 81A72A2B
	s_mov_b32 s42, s46                                         // 00000000253C: BEAA002E
	s_cmp_ge_i32 s31, s39                                      // 000000002540: BF03271F
	s_cbranch_scc1 label_0249                                  // 000000002544: BF8501F7
	s_mul_i32 s31, s8, 0x80                                    // 000000002548: 921FFF08 00000080
	s_mul_i32 s31, s2, s31                                     // 000000002550: 921F1F02
	s_mul_i32 s32, s3, s6                                      // 000000002554: 92200603
	s_mul_i32 s33, s42, s8                                     // 000000002558: 9221082A
	s_add_u32 s34, s31, s32                                    // 00000000255C: 8022201F
	s_add_u32 s34, s34, s33                                    // 000000002560: 80222122
	s_mul_i32 s32, s39, s8                                     // 000000002564: 92200827
	s_sub_i32 s32, s32, s31                                    // 000000002568: 81A01F20
	s_mov_b32 s14, s32                                         // 00000000256C: BE8E0020
	s_add_u32 s12, s34, s24                                    // 000000002570: 800C1822
	s_addc_u32 s13, 0, s25                                     // 000000002574: 820D1980
	s_mul_i32 s31, s52, 0x80                                   // 000000002578: 921FFF34 00000080
	s_mul_i32 s31, s2, s31                                     // 000000002580: 921F1F02
	s_mul_i32 s32, s3, s50                                     // 000000002584: 92203203
	s_mul_i32 s33, s42, s52                                    // 000000002588: 9221342A
	s_add_u32 s53, s31, s32                                    // 00000000258C: 8035201F
	s_add_u32 s53, s53, s33                                    // 000000002590: 80352135
	s_mul_i32 s32, s39, s52                                    // 000000002594: 92203427
	s_sub_i32 s32, s32, s31                                    // 000000002598: 81A01F20
	s_mov_b32 s22, s32                                         // 00000000259C: BE960020
	s_add_u32 s20, s53, s28                                    // 0000000025A0: 80141C35
	s_addc_u32 s21, 0, s29                                     // 0000000025A4: 82151D80
	s_mul_i32 s31, s11, 0x80                                   // 0000000025A8: 921FFF0B 00000080
	s_mul_i32 s31, s2, s31                                     // 0000000025B0: 921F1F02
	s_mul_i32 s32, s3, s9                                      // 0000000025B4: 92200903
	s_mul_i32 s33, s42, s11                                    // 0000000025B8: 92210B2A
	s_add_u32 s35, s31, s32                                    // 0000000025BC: 8023201F
	s_add_u32 s35, s35, s33                                    // 0000000025C0: 80232123
	s_mul_i32 s32, s39, s11                                    // 0000000025C4: 92200B27
	s_sub_i32 s32, s32, s31                                    // 0000000025C8: 81A01F20
	s_mov_b32 s18, s32                                         // 0000000025CC: BE920020
	s_add_u32 s16, s35, s26                                    // 0000000025D0: 80101A23
	s_addc_u32 s17, 0, s27                                     // 0000000025D4: 82111B80
	v_readfirstlane_b32 s30, v3                                // 0000000025D8: 7E3C0503
	v_lshrrev_b32_e32 v20, 3, v0                               // 0000000025DC: 20280083
	v_mul_i32_i24_e32 v20, s8, v20                             // 0000000025E0: 0C282808
	v_and_b32_e32 v21, 7, v0                                   // 0000000025E4: 262A0087
	v_mul_i32_i24_e32 v21, 16, v21                             // 0000000025E8: 0C2A2A90
	v_add_u32_e32 v21, v20, v21                                // 0000000025EC: 682A2B14
	v_mov_b32_e32 v4, v21                                      // 0000000025F0: 7E080315
	s_mul_i32 s31, 32, s8                                      // 0000000025F4: 921F08A0
	s_mul_i32 s31, s30, s31                                    // 0000000025F8: 921F1F1E
	v_add_u32_e32 v4, s31, v4                                  // 0000000025FC: 6808081F
	v_lshrrev_b32_e32 v20, 3, v0                               // 000000002600: 20280083
	v_mul_i32_i24_e32 v20, s52, v20                            // 000000002604: 0C282834
	v_and_b32_e32 v21, 7, v0                                   // 000000002608: 262A0087
	v_mul_i32_i24_e32 v21, 16, v21                             // 00000000260C: 0C2A2A90
	v_add_u32_e32 v21, v20, v21                                // 000000002610: 682A2B14
	v_mov_b32_e32 v29, v21                                     // 000000002614: 7E3A0315
	s_mul_i32 s31, 32, s52                                     // 000000002618: 921F34A0
	s_mul_i32 s31, s30, s31                                    // 00000000261C: 921F1F1E
	v_add_u32_e32 v29, s31, v29                                // 000000002620: 683A3A1F
	v_lshrrev_b32_e32 v5, 3, v0                                // 000000002624: 200A0083
	v_mul_i32_i24_e32 v5, s11, v5                              // 000000002628: 0C0A0A0B
	v_and_b32_e32 v20, 7, v0                                   // 00000000262C: 26280087
	v_lshrrev_b32_e32 v20, 1, v20                              // 000000002630: 20282881
	v_lshlrev_b32_e32 v20, 5, v20                              // 000000002634: 24282885
	v_add_u32_e32 v5, v5, v20                                  // 000000002638: 680A2905
	s_mul_i32 s31, 32, s11                                     // 00000000263C: 921F0BA0
	s_mul_i32 s31, s30, s31                                    // 000000002640: 921F1F1E
	v_add_u32_e32 v5, s31, v5                                  // 000000002644: 680A0A1F
	v_and_b32_e32 v20, 7, v0                                   // 000000002648: 26280087
	v_lshlrev_b32_e32 v20, 3, v20                              // 00000000264C: 24282883
	s_sub_i32 s31, s37, 0                                      // 000000002650: 819F8025
	v_cmp_lt_u32_e64 s[36:37], v20, s31                        // 000000002654: D0C90024 00003F14
	v_and_b32_e32 v20, 1, v0                                   // 00000000265C: 26280081
	v_cmp_eq_u32_e64 s[38:39], v20, 0                          // 000000002660: D0CA0026 00010114
	v_lshlrev_b32_e32 v16, 2, v0                               // 000000002668: 24200082
	s_lshl_b32 s31, s30, 8                                     // 00000000266C: 8E1F881E
	v_add_u32_e32 v16, s31, v16                                // 000000002670: 6820201F
	v_lshrrev_b32_e32 v18, 3, v0                               // 000000002674: 20240083
	v_mul_i32_i24_e32 v18, 32, v18                             // 000000002678: 0C2424A0
	v_add_u32_e32 v18, s31, v18                                // 00000000267C: 6824241F
	v_add_u32_e32 v19, 16, v18                                 // 000000002680: 68262490
	v_mov_b32_e32 v14, 0                                       // 000000002684: 7E1C0280
	s_mul_i32 s31, s8, 0                                       // 000000002688: 921F8008
	s_lshl_b32 s31, s31, 3                                     // 00000000268C: 8E1F831F
	v_add_u32_e32 v15, s31, v4                                 // 000000002690: 681E081F
	s_mul_i32 s31, s52, 0                                      // 000000002694: 921F8034
	s_lshl_b32 s31, s31, 3                                     // 000000002698: 8E1F831F
	v_add_u32_e32 v30, s31, v29                                // 00000000269C: 683C3A1F
	v_and_b32_e32 v28, 7, v0                                   // 0000000026A0: 26380087
	v_cmp_eq_u32_e64 s[48:49], v28, 0                          // 0000000026A4: D0CA0030 0001011C
	v_mov_b32_e32 v10, 0                                       // 0000000026AC: 7E140280
	v_mov_b32_e32 v6, 0                                        // 0000000026B0: 7E0C0280
	v_mov_b32_e32 v11, 0                                       // 0000000026B4: 7E160280
	v_mov_b32_e32 v7, 0                                        // 0000000026B8: 7E0E0280
	v_mov_b32_e32 v12, 0                                       // 0000000026BC: 7E180280
	v_mov_b32_e32 v8, 0                                        // 0000000026C0: 7E100280
	v_mov_b32_e32 v13, 0                                       // 0000000026C4: 7E1A0280
	v_mov_b32_e32 v9, 0                                        // 0000000026C8: 7E120280
	s_mov_b64 exec, s[36:37]                                   // 0000000026CC: BEFE0124
	buffer_load_dwordx4 v[10:13], v30, s[20:23], 0 offen       // 0000000026D0: E05C1000 80050A1E
	buffer_load_dwordx4 v[6:9], v15, s[12:15], 0 offen         // 0000000026D8: E05C1000 8003060F
	s_mov_b64 exec, -1                                         // 0000000026E0: BEFE01C1
	v_add_u32_e32 v15, 0x80, v15                               // 0000000026E4: 681E1EFF 00000080
	v_add_u32_e32 v30, 0x80, v30                               // 0000000026EC: 683C3CFF 00000080
	s_waitcnt vmcnt(0) expcnt(0) lgkmcnt(0)                    // 0000000026F4: BF8C0000
	s_barrier                                                  // 0000000026F8: BF8A0000
	v_mov_b32_e32 v24, 0                                       // 0000000026FC: 7E300280
	v_and_b32_e32 v20, 0xffff, v6                              // 000000002700: 26280CFF 0000FFFF
	v_lshrrev_b32_e32 v21, 16, v6                              // 000000002708: 202A0C90
	v_and_b32_e32 v22, 0xffff, v10                             // 00000000270C: 262C14FF 0000FFFF
	v_lshrrev_b32_e32 v23, 16, v10                             // 000000002714: 202E1490
	v_lshlrev_b32_e32 v20, 16, v20                             // 000000002718: 24282890
	v_lshlrev_b32_e32 v22, 16, v22                             // 00000000271C: 242C2C90
	v_lshlrev_b32_e32 v21, 16, v21                             // 000000002720: 242A2A90
	v_lshlrev_b32_e32 v23, 16, v23                             // 000000002724: 242E2E90
	v_fma_f32 v24, v20, v22, v24                               // 000000002728: D1CB0018 04622D14
	v_fma_f32 v24, v21, v23, v24                               // 000000002730: D1CB0018 04622F15
	v_and_b32_e32 v20, 0xffff, v7                              // 000000002738: 26280EFF 0000FFFF
	v_lshrrev_b32_e32 v21, 16, v7                              // 000000002740: 202A0E90
	v_and_b32_e32 v22, 0xffff, v11                             // 000000002744: 262C16FF 0000FFFF
	v_lshrrev_b32_e32 v23, 16, v11                             // 00000000274C: 202E1690
	v_lshlrev_b32_e32 v20, 16, v20                             // 000000002750: 24282890
	v_lshlrev_b32_e32 v22, 16, v22                             // 000000002754: 242C2C90
	v_lshlrev_b32_e32 v21, 16, v21                             // 000000002758: 242A2A90
	v_lshlrev_b32_e32 v23, 16, v23                             // 00000000275C: 242E2E90
	v_fma_f32 v24, v20, v22, v24                               // 000000002760: D1CB0018 04622D14
	v_fma_f32 v24, v21, v23, v24                               // 000000002768: D1CB0018 04622F15
	v_and_b32_e32 v20, 0xffff, v8                              // 000000002770: 262810FF 0000FFFF
	v_lshrrev_b32_e32 v21, 16, v8                              // 000000002778: 202A1090
	v_and_b32_e32 v22, 0xffff, v12                             // 00000000277C: 262C18FF 0000FFFF
	v_lshrrev_b32_e32 v23, 16, v12                             // 000000002784: 202E1890
	v_lshlrev_b32_e32 v20, 16, v20                             // 000000002788: 24282890
	v_lshlrev_b32_e32 v22, 16, v22                             // 00000000278C: 242C2C90
	v_lshlrev_b32_e32 v21, 16, v21                             // 000000002790: 242A2A90
	v_lshlrev_b32_e32 v23, 16, v23                             // 000000002794: 242E2E90
	v_fma_f32 v24, v20, v22, v24                               // 000000002798: D1CB0018 04622D14
	v_fma_f32 v24, v21, v23, v24                               // 0000000027A0: D1CB0018 04622F15
	v_and_b32_e32 v20, 0xffff, v9                              // 0000000027A8: 262812FF 0000FFFF
	v_lshrrev_b32_e32 v21, 16, v9                              // 0000000027B0: 202A1290
	v_and_b32_e32 v22, 0xffff, v13                             // 0000000027B4: 262C1AFF 0000FFFF
	v_lshrrev_b32_e32 v23, 16, v13                             // 0000000027BC: 202E1A90
	v_lshlrev_b32_e32 v20, 16, v20                             // 0000000027C0: 24282890
	v_lshlrev_b32_e32 v22, 16, v22                             // 0000000027C4: 242C2C90
	v_lshlrev_b32_e32 v21, 16, v21                             // 0000000027C8: 242A2A90
	v_lshlrev_b32_e32 v23, 16, v23                             // 0000000027CC: 242E2E90
	v_fma_f32 v24, v20, v22, v24                               // 0000000027D0: D1CB0018 04622D14
	v_fma_f32 v24, v21, v23, v24                               // 0000000027D8: D1CB0018 04622F15
	ds_write_b32 v16, v24                                      // 0000000027E0: D81A0000 00001810
	s_waitcnt lgkmcnt(0)                                       // 0000000027E8: BF8CC07F
	s_mov_b64 exec, s[48:49]                                   // 0000000027EC: BEFE0130
	ds_read_b128 v[20:23], v18                                 // 0000000027F0: D9FE0000 14000012
	s_waitcnt lgkmcnt(0)                                       // 0000000027F8: BF8CC07F
	ds_read_b128 v[24:27], v19                                 // 0000000027FC: D9FE0000 18000013
	s_waitcnt lgkmcnt(0)                                       // 000000002804: BF8CC07F
	v_add_f32_e32 v14, v20, v14                                // 000000002808: 021C1D14
	v_add_f32_e32 v14, v21, v14                                // 00000000280C: 021C1D15
	v_add_f32_e32 v14, v22, v14                                // 000000002810: 021C1D16
	v_add_f32_e32 v14, v23, v14                                // 000000002814: 021C1D17
	v_add_f32_e32 v14, v24, v14                                // 000000002818: 021C1D18
	v_add_f32_e32 v14, v25, v14                                // 00000000281C: 021C1D19
	v_add_f32_e32 v14, v26, v14                                // 000000002820: 021C1D1A
	v_add_f32_e32 v14, v27, v14                                // 000000002824: 021C1D1B
	s_mov_b64 exec, -1                                         // 000000002828: BEFE01C1
	s_mul_i32 s31, s8, 1                                       // 00000000282C: 921F8108
	s_lshl_b32 s31, s31, 3                                     // 000000002830: 8E1F831F
	v_add_u32_e32 v15, s31, v4                                 // 000000002834: 681E081F
	s_mul_i32 s31, s52, 1                                      // 000000002838: 921F8134
	s_lshl_b32 s31, s31, 3                                     // 00000000283C: 8E1F831F
	v_add_u32_e32 v30, s31, v29                                // 000000002840: 683C3A1F
	v_and_b32_e32 v28, 7, v0                                   // 000000002844: 26380087
	v_cmp_eq_u32_e64 s[48:49], v28, 2                          // 000000002848: D0CA0030 0001051C
	v_mov_b32_e32 v10, 0                                       // 000000002850: 7E140280
	v_mov_b32_e32 v6, 0                                        // 000000002854: 7E0C0280
	v_mov_b32_e32 v11, 0                                       // 000000002858: 7E160280
	v_mov_b32_e32 v7, 0                                        // 00000000285C: 7E0E0280
	v_mov_b32_e32 v12, 0                                       // 000000002860: 7E180280
	v_mov_b32_e32 v8, 0                                        // 000000002864: 7E100280
	v_mov_b32_e32 v13, 0                                       // 000000002868: 7E1A0280
	v_mov_b32_e32 v9, 0                                        // 00000000286C: 7E120280
	s_mov_b64 exec, s[36:37]                                   // 000000002870: BEFE0124
	buffer_load_dwordx4 v[10:13], v30, s[20:23], 0 offen       // 000000002874: E05C1000 80050A1E
	buffer_load_dwordx4 v[6:9], v15, s[12:15], 0 offen         // 00000000287C: E05C1000 8003060F
	s_mov_b64 exec, -1                                         // 000000002884: BEFE01C1
	v_add_u32_e32 v15, 0x80, v15                               // 000000002888: 681E1EFF 00000080
	v_add_u32_e32 v30, 0x80, v30                               // 000000002890: 683C3CFF 00000080
	s_waitcnt vmcnt(0) expcnt(0) lgkmcnt(0)                    // 000000002898: BF8C0000
	s_barrier                                                  // 00000000289C: BF8A0000
	v_mov_b32_e32 v24, 0                                       // 0000000028A0: 7E300280
	v_and_b32_e32 v20, 0xffff, v6                              // 0000000028A4: 26280CFF 0000FFFF
	v_lshrrev_b32_e32 v21, 16, v6                              // 0000000028AC: 202A0C90
	v_and_b32_e32 v22, 0xffff, v10                             // 0000000028B0: 262C14FF 0000FFFF
	v_lshrrev_b32_e32 v23, 16, v10                             // 0000000028B8: 202E1490
	v_lshlrev_b32_e32 v20, 16, v20                             // 0000000028BC: 24282890
	v_lshlrev_b32_e32 v22, 16, v22                             // 0000000028C0: 242C2C90
	v_lshlrev_b32_e32 v21, 16, v21                             // 0000000028C4: 242A2A90
	v_lshlrev_b32_e32 v23, 16, v23                             // 0000000028C8: 242E2E90
	v_fma_f32 v24, v20, v22, v24                               // 0000000028CC: D1CB0018 04622D14
	v_fma_f32 v24, v21, v23, v24                               // 0000000028D4: D1CB0018 04622F15
	v_and_b32_e32 v20, 0xffff, v7                              // 0000000028DC: 26280EFF 0000FFFF
	v_lshrrev_b32_e32 v21, 16, v7                              // 0000000028E4: 202A0E90
	v_and_b32_e32 v22, 0xffff, v11                             // 0000000028E8: 262C16FF 0000FFFF
	v_lshrrev_b32_e32 v23, 16, v11                             // 0000000028F0: 202E1690
	v_lshlrev_b32_e32 v20, 16, v20                             // 0000000028F4: 24282890
	v_lshlrev_b32_e32 v22, 16, v22                             // 0000000028F8: 242C2C90
	v_lshlrev_b32_e32 v21, 16, v21                             // 0000000028FC: 242A2A90
	v_lshlrev_b32_e32 v23, 16, v23                             // 000000002900: 242E2E90
	v_fma_f32 v24, v20, v22, v24                               // 000000002904: D1CB0018 04622D14
	v_fma_f32 v24, v21, v23, v24                               // 00000000290C: D1CB0018 04622F15
	v_and_b32_e32 v20, 0xffff, v8                              // 000000002914: 262810FF 0000FFFF
	v_lshrrev_b32_e32 v21, 16, v8                              // 00000000291C: 202A1090
	v_and_b32_e32 v22, 0xffff, v12                             // 000000002920: 262C18FF 0000FFFF
	v_lshrrev_b32_e32 v23, 16, v12                             // 000000002928: 202E1890
	v_lshlrev_b32_e32 v20, 16, v20                             // 00000000292C: 24282890
	v_lshlrev_b32_e32 v22, 16, v22                             // 000000002930: 242C2C90
	v_lshlrev_b32_e32 v21, 16, v21                             // 000000002934: 242A2A90
	v_lshlrev_b32_e32 v23, 16, v23                             // 000000002938: 242E2E90
	v_fma_f32 v24, v20, v22, v24                               // 00000000293C: D1CB0018 04622D14
	v_fma_f32 v24, v21, v23, v24                               // 000000002944: D1CB0018 04622F15
	v_and_b32_e32 v20, 0xffff, v9                              // 00000000294C: 262812FF 0000FFFF
	v_lshrrev_b32_e32 v21, 16, v9                              // 000000002954: 202A1290
	v_and_b32_e32 v22, 0xffff, v13                             // 000000002958: 262C1AFF 0000FFFF
	v_lshrrev_b32_e32 v23, 16, v13                             // 000000002960: 202E1A90
	v_lshlrev_b32_e32 v20, 16, v20                             // 000000002964: 24282890
	v_lshlrev_b32_e32 v22, 16, v22                             // 000000002968: 242C2C90
	v_lshlrev_b32_e32 v21, 16, v21                             // 00000000296C: 242A2A90
	v_lshlrev_b32_e32 v23, 16, v23                             // 000000002970: 242E2E90
	v_fma_f32 v24, v20, v22, v24                               // 000000002974: D1CB0018 04622D14
	v_fma_f32 v24, v21, v23, v24                               // 00000000297C: D1CB0018 04622F15
	ds_write_b32 v16, v24                                      // 000000002984: D81A0000 00001810
	s_waitcnt lgkmcnt(0)                                       // 00000000298C: BF8CC07F
	s_mov_b64 exec, s[48:49]                                   // 000000002990: BEFE0130
	ds_read_b128 v[20:23], v18                                 // 000000002994: D9FE0000 14000012
	s_waitcnt lgkmcnt(0)                                       // 00000000299C: BF8CC07F
	ds_read_b128 v[24:27], v19                                 // 0000000029A0: D9FE0000 18000013
	s_waitcnt lgkmcnt(0)                                       // 0000000029A8: BF8CC07F
	v_add_f32_e32 v14, v20, v14                                // 0000000029AC: 021C1D14
	v_add_f32_e32 v14, v21, v14                                // 0000000029B0: 021C1D15
	v_add_f32_e32 v14, v22, v14                                // 0000000029B4: 021C1D16
	v_add_f32_e32 v14, v23, v14                                // 0000000029B8: 021C1D17
	v_add_f32_e32 v14, v24, v14                                // 0000000029BC: 021C1D18
	v_add_f32_e32 v14, v25, v14                                // 0000000029C0: 021C1D19
	v_add_f32_e32 v14, v26, v14                                // 0000000029C4: 021C1D1A
	v_add_f32_e32 v14, v27, v14                                // 0000000029C8: 021C1D1B
	s_mov_b64 exec, -1                                         // 0000000029CC: BEFE01C1
	s_mul_i32 s31, s8, 2                                       // 0000000029D0: 921F8208
	s_lshl_b32 s31, s31, 3                                     // 0000000029D4: 8E1F831F
	v_add_u32_e32 v15, s31, v4                                 // 0000000029D8: 681E081F
	s_mul_i32 s31, s52, 2                                      // 0000000029DC: 921F8234
	s_lshl_b32 s31, s31, 3                                     // 0000000029E0: 8E1F831F
	v_add_u32_e32 v30, s31, v29                                // 0000000029E4: 683C3A1F
	v_and_b32_e32 v28, 7, v0                                   // 0000000029E8: 26380087
	v_cmp_eq_u32_e64 s[48:49], v28, 4                          // 0000000029EC: D0CA0030 0001091C
	v_mov_b32_e32 v10, 0                                       // 0000000029F4: 7E140280
	v_mov_b32_e32 v6, 0                                        // 0000000029F8: 7E0C0280
	v_mov_b32_e32 v11, 0                                       // 0000000029FC: 7E160280
	v_mov_b32_e32 v7, 0                                        // 000000002A00: 7E0E0280
	v_mov_b32_e32 v12, 0                                       // 000000002A04: 7E180280
	v_mov_b32_e32 v8, 0                                        // 000000002A08: 7E100280
	v_mov_b32_e32 v13, 0                                       // 000000002A0C: 7E1A0280
	v_mov_b32_e32 v9, 0                                        // 000000002A10: 7E120280
	s_mov_b64 exec, s[36:37]                                   // 000000002A14: BEFE0124
	buffer_load_dwordx4 v[10:13], v30, s[20:23], 0 offen       // 000000002A18: E05C1000 80050A1E
	buffer_load_dwordx4 v[6:9], v15, s[12:15], 0 offen         // 000000002A20: E05C1000 8003060F
	s_mov_b64 exec, -1                                         // 000000002A28: BEFE01C1
	v_add_u32_e32 v15, 0x80, v15                               // 000000002A2C: 681E1EFF 00000080
	v_add_u32_e32 v30, 0x80, v30                               // 000000002A34: 683C3CFF 00000080
	s_waitcnt vmcnt(0) expcnt(0) lgkmcnt(0)                    // 000000002A3C: BF8C0000
	s_barrier                                                  // 000000002A40: BF8A0000
	v_mov_b32_e32 v24, 0                                       // 000000002A44: 7E300280
	v_and_b32_e32 v20, 0xffff, v6                              // 000000002A48: 26280CFF 0000FFFF
	v_lshrrev_b32_e32 v21, 16, v6                              // 000000002A50: 202A0C90
	v_and_b32_e32 v22, 0xffff, v10                             // 000000002A54: 262C14FF 0000FFFF
	v_lshrrev_b32_e32 v23, 16, v10                             // 000000002A5C: 202E1490
	v_lshlrev_b32_e32 v20, 16, v20                             // 000000002A60: 24282890
	v_lshlrev_b32_e32 v22, 16, v22                             // 000000002A64: 242C2C90
	v_lshlrev_b32_e32 v21, 16, v21                             // 000000002A68: 242A2A90
	v_lshlrev_b32_e32 v23, 16, v23                             // 000000002A6C: 242E2E90
	v_fma_f32 v24, v20, v22, v24                               // 000000002A70: D1CB0018 04622D14
	v_fma_f32 v24, v21, v23, v24                               // 000000002A78: D1CB0018 04622F15
	v_and_b32_e32 v20, 0xffff, v7                              // 000000002A80: 26280EFF 0000FFFF
	v_lshrrev_b32_e32 v21, 16, v7                              // 000000002A88: 202A0E90
	v_and_b32_e32 v22, 0xffff, v11                             // 000000002A8C: 262C16FF 0000FFFF
	v_lshrrev_b32_e32 v23, 16, v11                             // 000000002A94: 202E1690
	v_lshlrev_b32_e32 v20, 16, v20                             // 000000002A98: 24282890
	v_lshlrev_b32_e32 v22, 16, v22                             // 000000002A9C: 242C2C90
	v_lshlrev_b32_e32 v21, 16, v21                             // 000000002AA0: 242A2A90
	v_lshlrev_b32_e32 v23, 16, v23                             // 000000002AA4: 242E2E90
	v_fma_f32 v24, v20, v22, v24                               // 000000002AA8: D1CB0018 04622D14
	v_fma_f32 v24, v21, v23, v24                               // 000000002AB0: D1CB0018 04622F15
	v_and_b32_e32 v20, 0xffff, v8                              // 000000002AB8: 262810FF 0000FFFF
	v_lshrrev_b32_e32 v21, 16, v8                              // 000000002AC0: 202A1090
	v_and_b32_e32 v22, 0xffff, v12                             // 000000002AC4: 262C18FF 0000FFFF
	v_lshrrev_b32_e32 v23, 16, v12                             // 000000002ACC: 202E1890
	v_lshlrev_b32_e32 v20, 16, v20                             // 000000002AD0: 24282890
	v_lshlrev_b32_e32 v22, 16, v22                             // 000000002AD4: 242C2C90
	v_lshlrev_b32_e32 v21, 16, v21                             // 000000002AD8: 242A2A90
	v_lshlrev_b32_e32 v23, 16, v23                             // 000000002ADC: 242E2E90
	v_fma_f32 v24, v20, v22, v24                               // 000000002AE0: D1CB0018 04622D14
	v_fma_f32 v24, v21, v23, v24                               // 000000002AE8: D1CB0018 04622F15
	v_and_b32_e32 v20, 0xffff, v9                              // 000000002AF0: 262812FF 0000FFFF
	v_lshrrev_b32_e32 v21, 16, v9                              // 000000002AF8: 202A1290
	v_and_b32_e32 v22, 0xffff, v13                             // 000000002AFC: 262C1AFF 0000FFFF
	v_lshrrev_b32_e32 v23, 16, v13                             // 000000002B04: 202E1A90
	v_lshlrev_b32_e32 v20, 16, v20                             // 000000002B08: 24282890
	v_lshlrev_b32_e32 v22, 16, v22                             // 000000002B0C: 242C2C90
	v_lshlrev_b32_e32 v21, 16, v21                             // 000000002B10: 242A2A90
	v_lshlrev_b32_e32 v23, 16, v23                             // 000000002B14: 242E2E90
	v_fma_f32 v24, v20, v22, v24                               // 000000002B18: D1CB0018 04622D14
	v_fma_f32 v24, v21, v23, v24                               // 000000002B20: D1CB0018 04622F15
	ds_write_b32 v16, v24                                      // 000000002B28: D81A0000 00001810
	s_waitcnt lgkmcnt(0)                                       // 000000002B30: BF8CC07F
	s_mov_b64 exec, s[48:49]                                   // 000000002B34: BEFE0130
	ds_read_b128 v[20:23], v18                                 // 000000002B38: D9FE0000 14000012
	s_waitcnt lgkmcnt(0)                                       // 000000002B40: BF8CC07F
	ds_read_b128 v[24:27], v19                                 // 000000002B44: D9FE0000 18000013
	s_waitcnt lgkmcnt(0)                                       // 000000002B4C: BF8CC07F
	v_add_f32_e32 v14, v20, v14                                // 000000002B50: 021C1D14
	v_add_f32_e32 v14, v21, v14                                // 000000002B54: 021C1D15
	v_add_f32_e32 v14, v22, v14                                // 000000002B58: 021C1D16
	v_add_f32_e32 v14, v23, v14                                // 000000002B5C: 021C1D17
	v_add_f32_e32 v14, v24, v14                                // 000000002B60: 021C1D18
	v_add_f32_e32 v14, v25, v14                                // 000000002B64: 021C1D19
	v_add_f32_e32 v14, v26, v14                                // 000000002B68: 021C1D1A
	v_add_f32_e32 v14, v27, v14                                // 000000002B6C: 021C1D1B
	s_mov_b64 exec, -1                                         // 000000002B70: BEFE01C1
	s_mul_i32 s31, s8, 3                                       // 000000002B74: 921F8308
	s_lshl_b32 s31, s31, 3                                     // 000000002B78: 8E1F831F
	v_add_u32_e32 v15, s31, v4                                 // 000000002B7C: 681E081F
	s_mul_i32 s31, s52, 3                                      // 000000002B80: 921F8334
	s_lshl_b32 s31, s31, 3                                     // 000000002B84: 8E1F831F
	v_add_u32_e32 v30, s31, v29                                // 000000002B88: 683C3A1F
	v_and_b32_e32 v28, 7, v0                                   // 000000002B8C: 26380087
	v_cmp_eq_u32_e64 s[48:49], v28, 6                          // 000000002B90: D0CA0030 00010D1C
	v_mov_b32_e32 v10, 0                                       // 000000002B98: 7E140280
	v_mov_b32_e32 v6, 0                                        // 000000002B9C: 7E0C0280
	v_mov_b32_e32 v11, 0                                       // 000000002BA0: 7E160280
	v_mov_b32_e32 v7, 0                                        // 000000002BA4: 7E0E0280
	v_mov_b32_e32 v12, 0                                       // 000000002BA8: 7E180280
	v_mov_b32_e32 v8, 0                                        // 000000002BAC: 7E100280
	v_mov_b32_e32 v13, 0                                       // 000000002BB0: 7E1A0280
	v_mov_b32_e32 v9, 0                                        // 000000002BB4: 7E120280
	s_mov_b64 exec, s[36:37]                                   // 000000002BB8: BEFE0124
	buffer_load_dwordx4 v[10:13], v30, s[20:23], 0 offen       // 000000002BBC: E05C1000 80050A1E
	buffer_load_dwordx4 v[6:9], v15, s[12:15], 0 offen         // 000000002BC4: E05C1000 8003060F
	s_mov_b64 exec, -1                                         // 000000002BCC: BEFE01C1
	v_add_u32_e32 v15, 0x80, v15                               // 000000002BD0: 681E1EFF 00000080
	v_add_u32_e32 v30, 0x80, v30                               // 000000002BD8: 683C3CFF 00000080
	s_waitcnt vmcnt(0) expcnt(0) lgkmcnt(0)                    // 000000002BE0: BF8C0000
	s_barrier                                                  // 000000002BE4: BF8A0000
	v_mov_b32_e32 v24, 0                                       // 000000002BE8: 7E300280
	v_and_b32_e32 v20, 0xffff, v6                              // 000000002BEC: 26280CFF 0000FFFF
	v_lshrrev_b32_e32 v21, 16, v6                              // 000000002BF4: 202A0C90
	v_and_b32_e32 v22, 0xffff, v10                             // 000000002BF8: 262C14FF 0000FFFF
	v_lshrrev_b32_e32 v23, 16, v10                             // 000000002C00: 202E1490
	v_lshlrev_b32_e32 v20, 16, v20                             // 000000002C04: 24282890
	v_lshlrev_b32_e32 v22, 16, v22                             // 000000002C08: 242C2C90
	v_lshlrev_b32_e32 v21, 16, v21                             // 000000002C0C: 242A2A90
	v_lshlrev_b32_e32 v23, 16, v23                             // 000000002C10: 242E2E90
	v_fma_f32 v24, v20, v22, v24                               // 000000002C14: D1CB0018 04622D14
	v_fma_f32 v24, v21, v23, v24                               // 000000002C1C: D1CB0018 04622F15
	v_and_b32_e32 v20, 0xffff, v7                              // 000000002C24: 26280EFF 0000FFFF
	v_lshrrev_b32_e32 v21, 16, v7                              // 000000002C2C: 202A0E90
	v_and_b32_e32 v22, 0xffff, v11                             // 000000002C30: 262C16FF 0000FFFF
	v_lshrrev_b32_e32 v23, 16, v11                             // 000000002C38: 202E1690
	v_lshlrev_b32_e32 v20, 16, v20                             // 000000002C3C: 24282890
	v_lshlrev_b32_e32 v22, 16, v22                             // 000000002C40: 242C2C90
	v_lshlrev_b32_e32 v21, 16, v21                             // 000000002C44: 242A2A90
	v_lshlrev_b32_e32 v23, 16, v23                             // 000000002C48: 242E2E90
	v_fma_f32 v24, v20, v22, v24                               // 000000002C4C: D1CB0018 04622D14
	v_fma_f32 v24, v21, v23, v24                               // 000000002C54: D1CB0018 04622F15
	v_and_b32_e32 v20, 0xffff, v8                              // 000000002C5C: 262810FF 0000FFFF
	v_lshrrev_b32_e32 v21, 16, v8                              // 000000002C64: 202A1090
	v_and_b32_e32 v22, 0xffff, v12                             // 000000002C68: 262C18FF 0000FFFF
	v_lshrrev_b32_e32 v23, 16, v12                             // 000000002C70: 202E1890
	v_lshlrev_b32_e32 v20, 16, v20                             // 000000002C74: 24282890
	v_lshlrev_b32_e32 v22, 16, v22                             // 000000002C78: 242C2C90
	v_lshlrev_b32_e32 v21, 16, v21                             // 000000002C7C: 242A2A90
	v_lshlrev_b32_e32 v23, 16, v23                             // 000000002C80: 242E2E90
	v_fma_f32 v24, v20, v22, v24                               // 000000002C84: D1CB0018 04622D14
	v_fma_f32 v24, v21, v23, v24                               // 000000002C8C: D1CB0018 04622F15
	v_and_b32_e32 v20, 0xffff, v9                              // 000000002C94: 262812FF 0000FFFF
	v_lshrrev_b32_e32 v21, 16, v9                              // 000000002C9C: 202A1290
	v_and_b32_e32 v22, 0xffff, v13                             // 000000002CA0: 262C1AFF 0000FFFF
	v_lshrrev_b32_e32 v23, 16, v13                             // 000000002CA8: 202E1A90
	v_lshlrev_b32_e32 v20, 16, v20                             // 000000002CAC: 24282890
	v_lshlrev_b32_e32 v22, 16, v22                             // 000000002CB0: 242C2C90
	v_lshlrev_b32_e32 v21, 16, v21                             // 000000002CB4: 242A2A90
	v_lshlrev_b32_e32 v23, 16, v23                             // 000000002CB8: 242E2E90
	v_fma_f32 v24, v20, v22, v24                               // 000000002CBC: D1CB0018 04622D14
	v_fma_f32 v24, v21, v23, v24                               // 000000002CC4: D1CB0018 04622F15
	ds_write_b32 v16, v24                                      // 000000002CCC: D81A0000 00001810
	s_waitcnt lgkmcnt(0)                                       // 000000002CD4: BF8CC07F
	s_mov_b64 exec, s[48:49]                                   // 000000002CD8: BEFE0130
	ds_read_b128 v[20:23], v18                                 // 000000002CDC: D9FE0000 14000012
	s_waitcnt lgkmcnt(0)                                       // 000000002CE4: BF8CC07F
	ds_read_b128 v[24:27], v19                                 // 000000002CE8: D9FE0000 18000013
	s_waitcnt lgkmcnt(0)                                       // 000000002CF0: BF8CC07F
	v_add_f32_e32 v14, v20, v14                                // 000000002CF4: 021C1D14
	v_add_f32_e32 v14, v21, v14                                // 000000002CF8: 021C1D15
	v_add_f32_e32 v14, v22, v14                                // 000000002CFC: 021C1D16
	v_add_f32_e32 v14, v23, v14                                // 000000002D00: 021C1D17
	v_add_f32_e32 v14, v24, v14                                // 000000002D04: 021C1D18
	v_add_f32_e32 v14, v25, v14                                // 000000002D08: 021C1D19
	v_add_f32_e32 v14, v26, v14                                // 000000002D0C: 021C1D1A
	v_add_f32_e32 v14, v27, v14                                // 000000002D10: 021C1D1B
	s_mov_b64 exec, -1                                         // 000000002D14: BEFE01C1
	s_mov_b64 exec, s[38:39]                                   // 000000002D18: BEFE0126
	buffer_store_dword v14, v5, s[16:19], 0 offen              // 000000002D1C: E0701000 80040E05

0000000000002d24 <label_0249>:
	s_waitcnt vmcnt(0) expcnt(0) lgkmcnt(0)                    // 000000002D24: BF8C0000
	s_endpgm                                                   // 000000002D28: BF810000
